;; amdgpu-corpus repo=ROCm/rocFFT kind=compiled arch=gfx906 opt=O3
	.text
	.amdgcn_target "amdgcn-amd-amdhsa--gfx906"
	.amdhsa_code_object_version 6
	.protected	fft_rtc_back_len169_factors_13_13_wgs_156_tpt_13_sp_op_CI_CI_sbrc_unaligned ; -- Begin function fft_rtc_back_len169_factors_13_13_wgs_156_tpt_13_sp_op_CI_CI_sbrc_unaligned
	.globl	fft_rtc_back_len169_factors_13_13_wgs_156_tpt_13_sp_op_CI_CI_sbrc_unaligned
	.p2align	8
	.type	fft_rtc_back_len169_factors_13_13_wgs_156_tpt_13_sp_op_CI_CI_sbrc_unaligned,@function
fft_rtc_back_len169_factors_13_13_wgs_156_tpt_13_sp_op_CI_CI_sbrc_unaligned: ; @fft_rtc_back_len169_factors_13_13_wgs_156_tpt_13_sp_op_CI_CI_sbrc_unaligned
; %bb.0:
	s_load_dwordx8 s[8:15], s[4:5], 0x0
	s_mov_b32 s34, 0
	s_mov_b32 s30, 3
	s_mov_b64 s[36:37], 2
	s_mov_b32 s40, s34
	s_waitcnt lgkmcnt(0)
	s_load_dword s33, s[12:13], 0x8
	s_load_dwordx4 s[20:23], s[4:5], 0x58
	s_load_dwordx2 s[28:29], s[4:5], 0x20
	s_load_dwordx4 s[24:27], s[14:15], 0x0
	s_waitcnt lgkmcnt(0)
	s_add_i32 s0, s33, -1
	s_mul_hi_u32 s0, s0, 0xaaaaaaab
	s_lshr_b32 s0, s0, 3
	s_add_i32 s7, s0, 1
	v_cvt_f32_u32_e32 v1, s7
	s_sub_i32 s2, 0, s7
	s_load_dwordx4 s[16:19], s[28:29], 0x0
	v_cmp_gt_u64_e64 s[0:1], s[10:11], 2
	v_rcp_iflag_f32_e32 v1, v1
	v_mul_f32_e32 v1, 0x4f7ffffe, v1
	v_cvt_u32_f32_e32 v1, v1
	v_readfirstlane_b32 s3, v1
	s_mul_i32 s2, s2, s3
	s_mul_hi_u32 s2, s3, s2
	s_add_i32 s3, s3, s2
	s_mul_hi_u32 s2, s6, s3
	s_mul_i32 s3, s2, s7
	s_sub_i32 s3, s6, s3
	s_add_i32 s4, s2, 1
	s_sub_i32 s5, s3, s7
	s_cmp_ge_u32 s3, s7
	s_cselect_b32 s2, s4, s2
	s_cselect_b32 s3, s5, s3
	s_add_i32 s4, s2, 1
	s_cmp_ge_u32 s3, s7
	s_cselect_b32 s27, s4, s2
	s_mul_i32 s2, s27, s7
	s_waitcnt lgkmcnt(0)
	s_sub_i32 s19, s6, s2
	s_mul_i32 s19, s19, 12
	s_mul_i32 s3, s17, s19
	s_mul_hi_u32 s4, s16, s19
	s_mul_i32 s41, s19, s26
	s_mul_i32 s2, s16, s19
	s_add_i32 s3, s4, s3
	s_and_b64 vcc, exec, s[0:1]
	s_cbranch_vccz .LBB0_9
; %bb.1:
	v_mov_b32_e32 v1, s10
	v_mov_b32_e32 v2, s11
.LBB0_2:                                ; =>This Inner Loop Header: Depth=1
	s_lshl_b64 s[4:5], s[36:37], 3
	s_add_u32 s0, s12, s4
	s_addc_u32 s1, s13, s5
	s_load_dwordx2 s[36:37], s[0:1], 0x0
	s_waitcnt lgkmcnt(0)
	s_mov_b32 s35, s37
	s_cmp_lg_u64 s[34:35], 0
	s_cbranch_scc0 .LBB0_7
; %bb.3:                                ;   in Loop: Header=BB0_2 Depth=1
	v_cvt_f32_u32_e32 v3, s36
	v_cvt_f32_u32_e32 v4, s37
	s_sub_u32 s0, 0, s36
	s_subb_u32 s1, 0, s37
	v_mac_f32_e32 v3, 0x4f800000, v4
	v_rcp_f32_e32 v3, v3
	v_mul_f32_e32 v3, 0x5f7ffffc, v3
	v_mul_f32_e32 v4, 0x2f800000, v3
	v_trunc_f32_e32 v4, v4
	v_mac_f32_e32 v3, 0xcf800000, v4
	v_cvt_u32_f32_e32 v4, v4
	v_cvt_u32_f32_e32 v3, v3
	v_readfirstlane_b32 s31, v4
	v_readfirstlane_b32 s35, v3
	s_mul_i32 s38, s0, s31
	s_mul_hi_u32 s42, s0, s35
	s_mul_i32 s39, s1, s35
	s_add_i32 s38, s42, s38
	s_mul_i32 s43, s0, s35
	s_add_i32 s38, s38, s39
	s_mul_hi_u32 s39, s35, s38
	s_mul_i32 s42, s35, s38
	s_mul_hi_u32 s35, s35, s43
	s_add_u32 s35, s35, s42
	s_addc_u32 s39, 0, s39
	s_mul_hi_u32 s44, s31, s43
	s_mul_i32 s43, s31, s43
	s_add_u32 s35, s35, s43
	s_mul_hi_u32 s42, s31, s38
	s_addc_u32 s35, s39, s44
	s_addc_u32 s39, s42, 0
	s_mul_i32 s38, s31, s38
	s_add_u32 s35, s35, s38
	s_addc_u32 s38, 0, s39
	v_add_co_u32_e32 v3, vcc, s35, v3
	s_cmp_lg_u64 vcc, 0
	s_addc_u32 s31, s31, s38
	v_readfirstlane_b32 s38, v3
	s_mul_i32 s35, s0, s31
	s_mul_hi_u32 s39, s0, s38
	s_add_i32 s35, s39, s35
	s_mul_i32 s1, s1, s38
	s_add_i32 s35, s35, s1
	s_mul_i32 s0, s0, s38
	s_mul_hi_u32 s39, s31, s0
	s_mul_i32 s42, s31, s0
	s_mul_i32 s44, s38, s35
	s_mul_hi_u32 s0, s38, s0
	s_mul_hi_u32 s43, s38, s35
	s_add_u32 s0, s0, s44
	s_addc_u32 s38, 0, s43
	s_add_u32 s0, s0, s42
	s_mul_hi_u32 s1, s31, s35
	s_addc_u32 s0, s38, s39
	s_addc_u32 s1, s1, 0
	s_mul_i32 s35, s31, s35
	s_add_u32 s0, s0, s35
	s_addc_u32 s1, 0, s1
	v_add_co_u32_e32 v3, vcc, s0, v3
	s_cmp_lg_u64 vcc, 0
	s_addc_u32 s0, s31, s1
	v_readfirstlane_b32 s31, v3
	s_mul_hi_u32 s1, s27, s0
	s_mul_i32 s0, s27, s0
	s_mul_hi_u32 s31, s27, s31
	s_add_u32 s0, s31, s0
	s_addc_u32 s31, 0, s1
	s_mul_i32 s0, s37, s31
	s_mul_hi_u32 s1, s36, s31
	s_add_i32 s35, s1, s0
	s_mul_i32 s1, s36, s31
	v_mov_b32_e32 v3, s1
	s_sub_i32 s0, 0, s35
	v_sub_co_u32_e32 v3, vcc, s27, v3
	s_cmp_lg_u64 vcc, 0
	s_subb_u32 s38, s0, s37
	v_subrev_co_u32_e64 v4, s[0:1], s36, v3
	s_cmp_lg_u64 s[0:1], 0
	s_subb_u32 s0, s38, 0
	s_cmp_ge_u32 s0, s37
	v_readfirstlane_b32 s38, v4
	s_cselect_b32 s1, -1, 0
	s_cmp_ge_u32 s38, s36
	s_cselect_b32 s38, -1, 0
	s_cmp_eq_u32 s0, s37
	s_cselect_b32 s0, s38, s1
	s_add_u32 s1, s31, 1
	s_addc_u32 s38, 0, 0
	s_add_u32 s39, s31, 2
	s_addc_u32 s42, 0, 0
	s_cmp_lg_u32 s0, 0
	s_cselect_b32 s0, s39, s1
	s_cselect_b32 s1, s42, s38
	s_cmp_lg_u64 vcc, 0
	s_subb_u32 s35, 0, s35
	s_cmp_ge_u32 s35, s37
	v_readfirstlane_b32 s39, v3
	s_cselect_b32 s38, -1, 0
	s_cmp_ge_u32 s39, s36
	s_cselect_b32 s39, -1, 0
	s_cmp_eq_u32 s35, s37
	s_cselect_b32 s35, s39, s38
	s_cmp_lg_u32 s35, 0
	s_cselect_b32 s1, s1, 0
	s_cselect_b32 s0, s0, s31
	s_cbranch_execnz .LBB0_5
.LBB0_4:                                ;   in Loop: Header=BB0_2 Depth=1
	v_cvt_f32_u32_e32 v3, s36
	s_sub_i32 s0, 0, s36
	v_rcp_iflag_f32_e32 v3, v3
	v_mul_f32_e32 v3, 0x4f7ffffe, v3
	v_cvt_u32_f32_e32 v3, v3
	v_readfirstlane_b32 s1, v3
	s_mul_i32 s0, s0, s1
	s_mul_hi_u32 s0, s1, s0
	s_add_i32 s1, s1, s0
	s_mul_hi_u32 s0, s27, s1
	s_mul_i32 s31, s0, s36
	s_sub_i32 s31, s27, s31
	s_add_i32 s1, s0, 1
	s_sub_i32 s35, s31, s36
	s_cmp_ge_u32 s31, s36
	s_cselect_b32 s0, s1, s0
	s_cselect_b32 s31, s35, s31
	s_add_i32 s1, s0, 1
	s_cmp_ge_u32 s31, s36
	s_cselect_b32 s0, s1, s0
	s_mov_b32 s1, s34
.LBB0_5:                                ;   in Loop: Header=BB0_2 Depth=1
	s_mul_i32 s31, s0, s37
	s_mul_hi_u32 s35, s0, s36
	s_add_i32 s31, s35, s31
	s_mul_i32 s1, s1, s36
	s_add_i32 s31, s31, s1
	s_mul_i32 s1, s0, s36
	s_sub_u32 s1, s27, s1
	s_subb_u32 s27, 0, s31
	s_add_u32 s38, s14, s4
	s_addc_u32 s39, s15, s5
	s_load_dwordx2 s[38:39], s[38:39], 0x0
	s_mul_i32 s7, s7, s36
	s_waitcnt lgkmcnt(0)
	s_mul_i32 s31, s38, s27
	s_mul_hi_u32 s35, s38, s1
	s_add_i32 s31, s35, s31
	s_mul_i32 s35, s39, s1
	s_add_i32 s31, s31, s35
	s_mul_i32 s35, s38, s1
	s_add_u32 s41, s35, s41
	s_addc_u32 s40, s31, s40
	s_add_u32 s4, s28, s4
	s_addc_u32 s5, s29, s5
	s_load_dwordx2 s[4:5], s[4:5], 0x0
	s_waitcnt lgkmcnt(0)
	s_mul_i32 s27, s4, s27
	s_mul_hi_u32 s31, s4, s1
	s_add_i32 s27, s31, s27
	s_mul_i32 s5, s5, s1
	s_mov_b32 s31, s34
	s_add_i32 s27, s27, s5
	s_mul_i32 s1, s4, s1
	v_cmp_ge_u64_e32 vcc, s[30:31], v[1:2]
	s_add_u32 s2, s1, s2
	s_addc_u32 s3, s27, s3
	s_mov_b64 s[36:37], s[30:31]
	s_add_i32 s30, s30, 1
	s_cbranch_vccnz .LBB0_8
; %bb.6:                                ;   in Loop: Header=BB0_2 Depth=1
	s_mov_b32 s27, s0
	s_branch .LBB0_2
.LBB0_7:                                ;   in Loop: Header=BB0_2 Depth=1
                                        ; implicit-def: $sgpr0_sgpr1
	s_branch .LBB0_4
.LBB0_8:
	v_cvt_f32_u32_e32 v1, s7
	s_sub_i32 s0, 0, s7
	v_rcp_iflag_f32_e32 v1, v1
	v_mul_f32_e32 v1, 0x4f7ffffe, v1
	v_cvt_u32_f32_e32 v1, v1
	v_readfirstlane_b32 s1, v1
	s_mul_i32 s0, s0, s1
	s_mul_hi_u32 s0, s1, s0
	s_add_i32 s1, s1, s0
	s_mul_hi_u32 s0, s6, s1
	s_mul_i32 s1, s0, s7
	s_sub_i32 s1, s6, s1
	s_add_i32 s4, s0, 1
	s_sub_i32 s5, s1, s7
	s_cmp_ge_u32 s1, s7
	s_cselect_b32 s0, s4, s0
	s_cselect_b32 s1, s5, s1
	s_add_i32 s4, s0, 1
	s_cmp_ge_u32 s1, s7
	s_cselect_b32 s27, s4, s0
.LBB0_9:
	s_lshl_b64 s[0:1], s[10:11], 3
	s_add_u32 s4, s14, s0
	s_addc_u32 s5, s15, s1
	s_load_dwordx2 s[4:5], s[4:5], 0x0
	s_mov_b64 s[10:11], -1
	v_lshl_add_u32 v3, v0, 3, 0
	s_waitcnt lgkmcnt(0)
	s_mul_i32 s5, s5, s27
	s_mul_hi_u32 s6, s4, s27
	s_mul_i32 s4, s4, s27
	s_add_i32 s5, s6, s5
	s_add_u32 s6, s4, s41
	s_addc_u32 s7, s5, s40
	s_add_u32 s0, s28, s0
	s_addc_u32 s1, s29, s1
	s_load_dwordx2 s[0:1], s[0:1], 0x0
	s_add_i32 s4, s19, 12
	s_cmp_le_u32 s4, s33
	s_cselect_b64 s[4:5], -1, 0
	s_and_b64 vcc, exec, s[4:5]
	s_cbranch_vccnz .LBB0_13
; %bb.10:
	s_lshl_b64 s[10:11], s[6:7], 3
	s_add_u32 s12, s20, s10
	s_addc_u32 s14, s21, s11
	s_mov_b64 s[10:11], 0
	s_mov_b32 s13, 0xc1e5
	v_mov_b32_e32 v2, 0
	v_mov_b32_e32 v4, s14
	s_movk_i32 s14, 0x7eb
	v_mov_b32_e32 v5, v0
	v_mov_b32_e32 v6, v3
.LBB0_11:                               ; =>This Inner Loop Header: Depth=1
	v_mul_u32_u24_sdwa v1, v5, s13 dst_sel:DWORD dst_unused:UNUSED_PAD src0_sel:WORD_0 src1_sel:DWORD
	v_lshrrev_b32_e32 v1, 23, v1
	v_mul_lo_u16_e32 v7, 0xa9, v1
	v_sub_u16_e32 v11, v5, v7
	v_mul_lo_u32 v1, s26, v1
	v_mad_u64_u32 v[7:8], s[28:29], s24, v11, 0
	v_add_u32_e32 v5, 0x9c, v5
	v_lshlrev_b64 v[9:10], 3, v[1:2]
	v_mov_b32_e32 v1, v8
	v_mad_u64_u32 v[11:12], s[28:29], s25, v11, v[1:2]
	v_mov_b32_e32 v8, v11
	v_lshlrev_b64 v[7:8], 3, v[7:8]
	v_add_co_u32_e32 v1, vcc, s12, v7
	v_addc_co_u32_e32 v8, vcc, v4, v8, vcc
	v_add_co_u32_e32 v7, vcc, v1, v9
	v_addc_co_u32_e32 v8, vcc, v8, v10, vcc
	global_load_dwordx2 v[7:8], v[7:8], off
	v_cmp_lt_u32_e32 vcc, s14, v5
	s_or_b64 s[10:11], vcc, s[10:11]
	s_waitcnt vmcnt(0)
	ds_write_b64 v6, v[7:8]
	v_add_u32_e32 v6, 0x4e0, v6
	s_andn2_b64 exec, exec, s[10:11]
	s_cbranch_execnz .LBB0_11
; %bb.12:
	s_or_b64 exec, exec, s[10:11]
	s_mov_b64 s[10:11], 0
.LBB0_13:
	s_and_b64 vcc, exec, s[10:11]
	s_cbranch_vccz .LBB0_15
; %bb.14:
	s_movk_i32 s10, 0x184
	v_mul_u32_u24_sdwa v1, v0, s10 dst_sel:DWORD dst_unused:UNUSED_PAD src0_sel:WORD_0 src1_sel:DWORD
	v_lshrrev_b32_e32 v13, 16, v1
	v_mul_lo_u32 v1, s26, v13
	v_mov_b32_e32 v2, 0
	v_add_u32_e32 v21, 0x9c, v0
	s_lshl_b64 s[6:7], s[6:7], 3
	v_lshlrev_b64 v[4:5], 3, v[1:2]
	v_add_u32_e32 v1, 0x138, v0
	v_mul_u32_u24_e32 v6, 0x184, v1
	v_lshrrev_b32_e32 v10, 16, v6
	v_mul_lo_u16_e32 v6, 0xa9, v10
	v_sub_u16_e32 v8, v1, v6
	v_mul_u32_u24_e32 v1, 0x184, v21
	v_mad_u64_u32 v[6:7], s[10:11], s24, v8, 0
	v_lshrrev_b32_e32 v22, 16, v1
	v_mul_lo_u32 v1, s26, v22
	v_mad_u64_u32 v[7:8], s[10:11], s25, v8, v[7:8]
	s_add_u32 s6, s20, s6
	v_lshlrev_b64 v[8:9], 3, v[1:2]
	v_mul_lo_u32 v1, s26, v10
	v_add_u32_e32 v10, 0x1d4, v0
	v_mul_u32_u24_e32 v11, 0x184, v10
	v_lshrrev_b32_e32 v14, 16, v11
	v_mul_lo_u16_e32 v11, 0xa9, v14
	v_sub_u16_e32 v15, v10, v11
	v_mad_u64_u32 v[10:11], s[10:11], s24, v15, 0
	v_lshlrev_b64 v[6:7], 3, v[6:7]
	s_addc_u32 s7, s21, s7
	v_mov_b32_e32 v12, s7
	v_add_co_u32_e32 v16, vcc, s6, v6
	v_addc_co_u32_e32 v17, vcc, v12, v7, vcc
	v_lshlrev_b64 v[6:7], 3, v[1:2]
	v_mov_b32_e32 v1, v11
	v_mad_u64_u32 v[11:12], s[10:11], s25, v15, v[1:2]
	v_mul_lo_u32 v1, s26, v14
	v_add_co_u32_e32 v6, vcc, v16, v6
	v_lshlrev_b64 v[10:11], 3, v[10:11]
	v_addc_co_u32_e32 v7, vcc, v17, v7, vcc
	v_mov_b32_e32 v12, s7
	v_add_co_u32_e32 v14, vcc, s6, v10
	v_addc_co_u32_e32 v12, vcc, v12, v11, vcc
	v_lshlrev_b64 v[10:11], 3, v[1:2]
	v_add_u32_e32 v15, 0x270, v0
	v_add_co_u32_e32 v10, vcc, v14, v10
	v_addc_co_u32_e32 v11, vcc, v12, v11, vcc
	v_mul_lo_u16_e32 v12, 0xa9, v13
	v_sub_u16_e32 v17, v0, v12
	v_mad_u64_u32 v[12:13], s[10:11], s24, v17, 0
	v_add_u32_e32 v16, 0x30c, v0
	v_mul_u32_u24_e32 v1, 0x184, v15
	v_mul_u32_u24_e32 v14, 0xc1f, v16
	v_lshrrev_b32_e32 v18, 16, v1
	v_mov_b32_e32 v1, v13
	v_lshrrev_b32_e32 v19, 19, v14
	v_mad_u64_u32 v[13:14], s[10:11], s25, v17, v[1:2]
	v_mul_lo_u16_e32 v1, 0xa9, v18
	v_mov_b32_e32 v20, s7
	v_lshlrev_b64 v[12:13], 3, v[12:13]
	v_sub_u16_e32 v14, v15, v1
	v_add_co_u32_e32 v1, vcc, s6, v12
	v_addc_co_u32_e32 v15, vcc, v20, v13, vcc
	v_mad_u64_u32 v[12:13], s[10:11], s24, v14, 0
	v_add_co_u32_e32 v4, vcc, v1, v4
	v_mov_b32_e32 v1, v13
	v_mad_u64_u32 v[13:14], s[10:11], s25, v14, v[1:2]
	v_addc_co_u32_e32 v5, vcc, v15, v5, vcc
	v_mul_lo_u16_e32 v15, 0xa9, v19
	v_sub_u16_e32 v16, v16, v15
	v_mad_u64_u32 v[14:15], s[10:11], s24, v16, 0
	v_mul_lo_u32 v1, s26, v18
	v_lshlrev_b64 v[12:13], 3, v[12:13]
	v_mov_b32_e32 v17, s7
	v_add_co_u32_e32 v18, vcc, s6, v12
	v_addc_co_u32_e32 v17, vcc, v17, v13, vcc
	v_lshlrev_b64 v[12:13], 3, v[1:2]
	v_mov_b32_e32 v1, v15
	v_mad_u64_u32 v[15:16], s[10:11], s25, v16, v[1:2]
	v_add_co_u32_e32 v12, vcc, v18, v12
	v_add_u32_e32 v16, 0x3a8, v0
	v_addc_co_u32_e32 v13, vcc, v17, v13, vcc
	v_mul_u32_u24_e32 v17, 0xc1f, v16
	v_mul_lo_u32 v1, s26, v19
	v_lshrrev_b32_e32 v19, 19, v17
	v_mul_lo_u16_e32 v17, 0xa9, v19
	v_sub_u16_e32 v20, v16, v17
	v_mad_u64_u32 v[16:17], s[10:11], s24, v20, 0
	v_lshlrev_b64 v[14:15], 3, v[14:15]
	v_mov_b32_e32 v18, s7
	v_add_co_u32_e32 v23, vcc, s6, v14
	v_addc_co_u32_e32 v24, vcc, v18, v15, vcc
	v_lshlrev_b64 v[14:15], 3, v[1:2]
	v_mov_b32_e32 v1, v17
	v_mad_u64_u32 v[17:18], s[10:11], s25, v20, v[1:2]
	v_add_u32_e32 v18, 0x444, v0
	v_mul_lo_u32 v1, s26, v19
	v_mul_u32_u24_e32 v19, 0xc1f, v18
	v_add_co_u32_e32 v14, vcc, v23, v14
	v_lshrrev_b32_e32 v23, 19, v19
	v_mul_lo_u16_e32 v19, 0xa9, v23
	v_addc_co_u32_e32 v15, vcc, v24, v15, vcc
	v_sub_u16_e32 v24, v18, v19
	v_mad_u64_u32 v[18:19], s[10:11], s24, v24, 0
	v_lshlrev_b64 v[16:17], 3, v[16:17]
	v_mov_b32_e32 v20, s7
	v_add_co_u32_e32 v25, vcc, s6, v16
	v_addc_co_u32_e32 v26, vcc, v20, v17, vcc
	v_lshlrev_b64 v[16:17], 3, v[1:2]
	v_mov_b32_e32 v1, v19
	v_mad_u64_u32 v[19:20], s[10:11], s25, v24, v[1:2]
	v_mul_lo_u16_e32 v1, 0xa9, v22
	v_sub_u16_e32 v22, v21, v1
	v_mul_lo_u32 v1, s26, v23
	v_add_co_u32_e32 v16, vcc, v25, v16
	v_lshlrev_b64 v[18:19], 3, v[18:19]
	v_mad_u64_u32 v[20:21], s[10:11], s24, v22, 0
	v_addc_co_u32_e32 v17, vcc, v26, v17, vcc
	v_mov_b32_e32 v23, s7
	v_add_co_u32_e32 v24, vcc, s6, v18
	v_addc_co_u32_e32 v23, vcc, v23, v19, vcc
	v_lshlrev_b64 v[18:19], 3, v[1:2]
	v_mov_b32_e32 v1, v21
	v_mad_u64_u32 v[21:22], s[10:11], s25, v22, v[1:2]
	v_add_co_u32_e32 v18, vcc, v24, v18
	global_load_dwordx2 v[10:11], v[10:11], off
	v_addc_co_u32_e32 v19, vcc, v23, v19, vcc
	global_load_dwordx2 v[22:23], v[12:13], off
	global_load_dwordx2 v[24:25], v[14:15], off
	;; [unrolled: 1-line block ×4, first 2 shown]
	v_add_u32_e32 v12, 0x4e0, v0
	v_mul_u32_u24_e32 v13, 0xc1f, v12
	v_lshrrev_b32_e32 v15, 19, v13
	v_mul_lo_u16_e32 v13, 0xa9, v15
	v_sub_u16_e32 v14, v12, v13
	v_mad_u64_u32 v[12:13], s[10:11], s24, v14, 0
	v_lshlrev_b64 v[20:21], 3, v[20:21]
	v_mov_b32_e32 v1, s7
	v_add_co_u32_e32 v16, vcc, s6, v20
	v_addc_co_u32_e32 v17, vcc, v1, v21, vcc
	v_mov_b32_e32 v1, v13
	v_mad_u64_u32 v[13:14], s[10:11], s25, v14, v[1:2]
	v_add_u32_e32 v14, 0x57c, v0
	v_add_co_u32_e32 v8, vcc, v16, v8
	v_mul_lo_u32 v1, s26, v15
	v_mul_u32_u24_e32 v15, 0xc1f, v14
	v_addc_co_u32_e32 v9, vcc, v17, v9, vcc
	v_lshrrev_b32_e32 v17, 19, v15
	v_mul_lo_u16_e32 v15, 0xa9, v17
	v_sub_u16_e32 v18, v14, v15
	v_mad_u64_u32 v[14:15], s[10:11], s24, v18, 0
	v_lshlrev_b64 v[12:13], 3, v[12:13]
	v_mov_b32_e32 v16, s7
	v_add_co_u32_e32 v19, vcc, s6, v12
	v_addc_co_u32_e32 v20, vcc, v16, v13, vcc
	v_lshlrev_b64 v[12:13], 3, v[1:2]
	v_mov_b32_e32 v1, v15
	v_mad_u64_u32 v[15:16], s[10:11], s25, v18, v[1:2]
	v_add_u32_e32 v16, 0x618, v0
	v_mul_lo_u32 v1, s26, v17
	v_mul_u32_u24_e32 v17, 0xc1f, v16
	v_add_co_u32_e32 v12, vcc, v19, v12
	v_lshrrev_b32_e32 v19, 19, v17
	v_mul_lo_u16_e32 v17, 0xa9, v19
	v_addc_co_u32_e32 v13, vcc, v20, v13, vcc
	v_sub_u16_e32 v20, v16, v17
	v_mad_u64_u32 v[16:17], s[10:11], s24, v20, 0
	v_lshlrev_b64 v[14:15], 3, v[14:15]
	v_mov_b32_e32 v18, s7
	v_add_co_u32_e32 v21, vcc, s6, v14
	v_addc_co_u32_e32 v30, vcc, v18, v15, vcc
	v_lshlrev_b64 v[14:15], 3, v[1:2]
	v_mov_b32_e32 v1, v17
	v_mad_u64_u32 v[17:18], s[10:11], s25, v20, v[1:2]
	v_add_u32_e32 v18, 0x6b4, v0
	v_mul_lo_u32 v1, s26, v19
	v_mul_u32_u24_e32 v19, 0xc1f, v18
	v_add_co_u32_e32 v14, vcc, v21, v14
	v_lshrrev_b32_e32 v21, 19, v19
	v_mul_lo_u16_e32 v19, 0xa9, v21
	v_addc_co_u32_e32 v15, vcc, v30, v15, vcc
	v_sub_u16_e32 v30, v18, v19
	v_mad_u64_u32 v[18:19], s[10:11], s24, v30, 0
	v_lshlrev_b64 v[16:17], 3, v[16:17]
	v_mov_b32_e32 v20, s7
	v_add_co_u32_e32 v31, vcc, s6, v16
	v_addc_co_u32_e32 v32, vcc, v20, v17, vcc
	v_lshlrev_b64 v[16:17], 3, v[1:2]
	v_mov_b32_e32 v1, v19
	v_mad_u64_u32 v[19:20], s[10:11], s25, v30, v[1:2]
	v_add_u32_e32 v20, 0x750, v0
	v_add_co_u32_e32 v16, vcc, v31, v16
	v_mul_lo_u32 v1, s26, v21
	v_mul_u32_u24_e32 v21, 0xc1f, v20
	v_addc_co_u32_e32 v17, vcc, v32, v17, vcc
	v_lshrrev_b32_e32 v32, 19, v21
	v_mul_lo_u16_e32 v21, 0xa9, v32
	v_sub_u16_e32 v31, v20, v21
	v_mad_u64_u32 v[20:21], s[10:11], s24, v31, 0
	v_lshlrev_b64 v[18:19], 3, v[18:19]
	v_mov_b32_e32 v30, s7
	v_add_co_u32_e32 v33, vcc, s6, v18
	v_addc_co_u32_e32 v34, vcc, v30, v19, vcc
	v_lshlrev_b64 v[18:19], 3, v[1:2]
	v_mov_b32_e32 v1, v21
	v_mad_u64_u32 v[30:31], s[10:11], s25, v31, v[1:2]
	v_mul_lo_u32 v1, s26, v32
	v_add_co_u32_e32 v18, vcc, v33, v18
	v_mov_b32_e32 v21, v30
	v_lshlrev_b64 v[20:21], 3, v[20:21]
	v_addc_co_u32_e32 v19, vcc, v34, v19, vcc
	v_mov_b32_e32 v30, s7
	v_add_co_u32_e32 v34, vcc, s6, v20
	v_addc_co_u32_e32 v35, vcc, v30, v21, vcc
	v_lshlrev_b64 v[1:2], 3, v[1:2]
	global_load_dwordx2 v[20:21], v[4:5], off
	global_load_dwordx2 v[30:31], v[6:7], off
	;; [unrolled: 1-line block ×3, first 2 shown]
	v_add_co_u32_e32 v1, vcc, v34, v1
	v_addc_co_u32_e32 v2, vcc, v35, v2, vcc
	global_load_dwordx2 v[4:5], v[12:13], off
	global_load_dwordx2 v[6:7], v[14:15], off
	global_load_dwordx2 v[8:9], v[16:17], off
	global_load_dwordx2 v[34:35], v[18:19], off
	global_load_dwordx2 v[36:37], v[1:2], off
	v_add_u32_e32 v1, 0x800, v3
	s_waitcnt vmcnt(6)
	ds_write2_b64 v1, v[30:31], v[10:11] offset0:56 offset1:212
	v_add_u32_e32 v1, 0x1200, v3
	ds_write2_b64 v1, v[22:23], v[24:25] offset0:48 offset1:204
	s_waitcnt vmcnt(5)
	ds_write2_b64 v3, v[20:21], v[32:33] offset1:156
	v_add_u32_e32 v1, 0x1c00, v3
	ds_write2_b64 v1, v[26:27], v[28:29] offset0:40 offset1:196
	v_add_u32_e32 v1, 0x2400, v3
	s_waitcnt vmcnt(3)
	ds_write2_b64 v1, v[4:5], v[6:7] offset0:96 offset1:252
	v_add_u32_e32 v1, 0x3000, v3
	s_waitcnt vmcnt(1)
	ds_write2_b64 v1, v[8:9], v[34:35] offset0:24 offset1:180
	s_waitcnt vmcnt(0)
	ds_write_b64 v3, v[36:37] offset:14976
.LBB0_15:
	s_movk_i32 s6, 0x13b2
	v_mul_u32_u24_sdwa v1, v0, s6 dst_sel:DWORD dst_unused:UNUSED_PAD src0_sel:WORD_0 src1_sel:DWORD
	v_add_u32_sdwa v1, s19, v1 dst_sel:DWORD dst_unused:UNUSED_PAD src0_sel:DWORD src1_sel:WORD_1
	s_mov_b32 s6, 0xaaaaaaab
	v_mul_hi_u32 v2, v1, s6
	s_mov_b32 s6, 0x13b13b14
	v_mul_hi_u32 v3, v0, s6
	s_waitcnt lgkmcnt(0)
	v_lshrrev_b32_e32 v2, 3, v2
	v_mul_lo_u32 v2, v2, 12
	v_mul_u32_u24_e32 v3, 13, v3
	v_sub_u32_e32 v25, v0, v3
	s_barrier
	v_sub_u32_e32 v1, v1, v2
	v_mul_u32_u24_e32 v1, 0xa9, v1
	v_lshlrev_b32_e32 v1, 3, v1
	v_add_u32_e32 v26, 0, v1
	v_lshlrev_b32_e32 v2, 3, v25
	v_add_u32_e32 v24, v26, v2
	ds_read_b64 v[21:22], v24
	v_add3_u32 v23, 0, v2, v1
	ds_read2_b64 v[1:4], v23 offset0:13 offset1:26
	ds_read2_b64 v[5:8], v23 offset0:39 offset1:52
	;; [unrolled: 1-line block ×5, first 2 shown]
	s_mov_b32 s11, 0x3f62ad3f
	s_mov_b32 s10, 0x3f116cb1
	s_waitcnt lgkmcnt(4)
	v_add_f32_e32 v27, v21, v1
	v_add_f32_e32 v28, v22, v2
	v_add_f32_e32 v27, v27, v3
	v_add_f32_e32 v28, v28, v4
	s_waitcnt lgkmcnt(3)
	v_add_f32_e32 v27, v27, v5
	v_add_f32_e32 v28, v28, v6
	v_add_f32_e32 v27, v27, v7
	v_add_f32_e32 v28, v28, v8
	;; [unrolled: 5-line block ×3, first 2 shown]
	s_waitcnt lgkmcnt(1)
	v_add_f32_e32 v27, v27, v17
	v_add_f32_e32 v29, v28, v18
	;; [unrolled: 1-line block ×3, first 2 shown]
	s_waitcnt lgkmcnt(0)
	v_add_f32_e32 v27, v11, v5
	v_add_f32_e32 v34, v12, v6
	v_sub_f32_e32 v35, v5, v11
	v_sub_f32_e32 v36, v6, v12
	v_add_f32_e32 v37, v9, v7
	v_add_f32_e32 v38, v10, v8
	v_sub_f32_e32 v39, v7, v9
	v_sub_f32_e32 v40, v8, v10
	ds_read2_b64 v[5:8], v23 offset0:143 offset1:156
	v_add_f32_e32 v29, v29, v20
	v_add_f32_e32 v9, v28, v9
	;; [unrolled: 1-line block ×5, first 2 shown]
	v_sub_f32_e32 v20, v14, v20
	v_add_f32_e32 v10, v10, v12
	s_waitcnt lgkmcnt(0)
	v_add_f32_e32 v14, v8, v2
	v_sub_f32_e32 v2, v2, v8
	v_add_f32_e32 v41, v5, v3
	v_sub_f32_e32 v43, v3, v5
	v_add_f32_e32 v3, v9, v5
	v_add_f32_e32 v30, v19, v13
	v_sub_f32_e32 v19, v13, v19
	v_add_f32_e32 v32, v17, v15
	v_sub_f32_e32 v15, v15, v17
	;; [unrolled: 2-line block ×4, first 2 shown]
	v_add_f32_e32 v4, v10, v6
	v_add_f32_e32 v11, v3, v7
	v_mul_f32_e32 v3, 0xbeedf032, v2
	v_mul_f32_e32 v5, 0xbf52af12, v2
	;; [unrolled: 1-line block ×6, first 2 shown]
	v_add_f32_e32 v33, v18, v16
	v_sub_f32_e32 v16, v16, v18
	v_add_f32_e32 v12, v4, v8
	v_mov_b32_e32 v4, v3
	v_mov_b32_e32 v6, v5
	s_mov_b32 s6, 0x3df6dbef
	v_mov_b32_e32 v8, v7
	s_mov_b32 s7, 0xbeb58ec6
	v_mov_b32_e32 v10, v9
	s_mov_b32 s12, 0xbf3f9e67
	v_mov_b32_e32 v18, v17
	s_mov_b32 s13, 0xbf788fa5
	v_mov_b32_e32 v28, v2
	v_fmac_f32_e32 v4, 0x3f62ad3f, v13
	v_fma_f32 v3, v13, s11, -v3
	v_fmac_f32_e32 v6, 0x3f116cb1, v13
	v_fma_f32 v5, v13, s10, -v5
	;; [unrolled: 2-line block ×6, first 2 shown]
	v_mul_f32_e32 v13, 0x3f62ad3f, v14
	v_mul_f32_e32 v45, 0x3f116cb1, v14
	;; [unrolled: 1-line block ×6, first 2 shown]
	v_mov_b32_e32 v53, v14
	v_fmac_f32_e32 v14, 0xbe750f2a, v1
	v_add_f32_e32 v56, v21, v2
	v_mul_f32_e32 v2, 0xbf52af12, v44
	v_mov_b32_e32 v29, v13
	v_mov_b32_e32 v46, v45
	;; [unrolled: 1-line block ×5, first 2 shown]
	v_add_f32_e32 v57, v22, v14
	v_mov_b32_e32 v14, v2
	v_fmac_f32_e32 v29, 0x3eedf032, v1
	v_fmac_f32_e32 v13, 0xbeedf032, v1
	;; [unrolled: 1-line block ×11, first 2 shown]
	v_add_f32_e32 v1, v21, v4
	v_fmac_f32_e32 v14, 0x3f116cb1, v41
	v_add_f32_e32 v1, v14, v1
	v_mul_f32_e32 v14, 0x3f116cb1, v42
	v_add_f32_e32 v54, v21, v17
	v_mov_b32_e32 v17, v14
	v_add_f32_e32 v4, v22, v29
	v_add_f32_e32 v3, v21, v3
	;; [unrolled: 1-line block ×13, first 2 shown]
	v_fmac_f32_e32 v17, 0x3f52af12, v43
	v_mul_f32_e32 v21, 0xbf7e222b, v36
	v_add_f32_e32 v4, v17, v4
	v_mov_b32_e32 v17, v21
	v_add_f32_e32 v13, v22, v13
	v_add_f32_e32 v45, v22, v45
	;; [unrolled: 1-line block ×7, first 2 shown]
	v_fmac_f32_e32 v17, 0x3df6dbef, v27
	v_mul_f32_e32 v22, 0x3df6dbef, v34
	v_add_f32_e32 v1, v17, v1
	v_mov_b32_e32 v17, v22
	v_fmac_f32_e32 v17, 0x3f7e222b, v35
	v_mul_f32_e32 v28, 0xbf6f5d39, v40
	v_add_f32_e32 v4, v17, v4
	v_mov_b32_e32 v17, v28
	;; [unrolled: 4-line block ×7, first 2 shown]
	v_fmac_f32_e32 v1, 0x3e750f2a, v15
	v_add_f32_e32 v18, v1, v4
	v_fma_f32 v1, v41, s10, -v2
	v_add_f32_e32 v1, v1, v3
	v_fma_f32 v3, v27, s6, -v21
	;; [unrolled: 2-line block ×5, first 2 shown]
	v_add_f32_e32 v1, v3, v1
	v_mul_f32_e32 v3, 0xbf6f5d39, v44
	v_fmac_f32_e32 v14, 0xbf52af12, v43
	v_mov_b32_e32 v4, v3
	v_add_f32_e32 v2, v14, v13
	v_fmac_f32_e32 v4, 0xbeb58ec6, v41
	v_mul_f32_e32 v14, 0xbe750f2a, v36
	v_add_f32_e32 v4, v4, v6
	v_mul_f32_e32 v6, 0xbeb58ec6, v42
	v_mov_b32_e32 v21, v14
	v_mov_b32_e32 v13, v6
	v_fmac_f32_e32 v21, 0xbf788fa5, v27
	v_mul_f32_e32 v28, 0xbf788fa5, v34
	v_fmac_f32_e32 v13, 0x3f6f5d39, v43
	v_add_f32_e32 v4, v21, v4
	v_mov_b32_e32 v21, v28
	v_fmac_f32_e32 v22, 0xbf7e222b, v35
	v_add_f32_e32 v13, v13, v29
	v_fmac_f32_e32 v21, 0x3e750f2a, v35
	v_mul_f32_e32 v29, 0x3f29c268, v40
	v_add_f32_e32 v2, v22, v2
	v_fmac_f32_e32 v58, 0xbf6f5d39, v39
	v_add_f32_e32 v13, v21, v13
	v_mov_b32_e32 v21, v29
	v_add_f32_e32 v2, v58, v2
	v_fmac_f32_e32 v21, 0xbf3f9e67, v37
	v_mul_f32_e32 v58, 0xbf3f9e67, v38
	v_add_f32_e32 v4, v21, v4
	v_mov_b32_e32 v21, v58
	v_fmac_f32_e32 v21, 0xbf29c268, v39
	v_mul_f32_e32 v59, 0x3f7e222b, v20
	v_fmac_f32_e32 v60, 0xbf29c268, v19
	v_add_f32_e32 v13, v21, v13
	v_mov_b32_e32 v21, v59
	v_add_f32_e32 v2, v60, v2
	v_fmac_f32_e32 v21, 0x3df6dbef, v30
	v_mul_f32_e32 v60, 0x3df6dbef, v31
	v_add_f32_e32 v4, v21, v4
	v_mov_b32_e32 v21, v60
	v_fmac_f32_e32 v21, 0xbf7e222b, v19
	v_mul_f32_e32 v61, 0x3eedf032, v16
	v_fma_f32 v3, v41, s7, -v3
	v_fmac_f32_e32 v6, 0xbf6f5d39, v43
	v_add_f32_e32 v13, v21, v13
	v_mov_b32_e32 v21, v61
	v_add_f32_e32 v3, v3, v5
	v_add_f32_e32 v5, v6, v45
	v_fmac_f32_e32 v28, 0xbe750f2a, v35
	v_fmac_f32_e32 v21, 0x3f62ad3f, v32
	v_fma_f32 v6, v27, s13, -v14
	v_add_f32_e32 v5, v28, v5
	v_fmac_f32_e32 v58, 0x3f29c268, v39
	v_add_f32_e32 v21, v21, v4
	v_mul_f32_e32 v4, 0x3f62ad3f, v33
	v_add_f32_e32 v3, v6, v3
	v_fma_f32 v6, v37, s12, -v29
	v_add_f32_e32 v5, v58, v5
	v_fmac_f32_e32 v60, 0x3f7e222b, v19
	v_mov_b32_e32 v22, v4
	v_add_f32_e32 v3, v6, v3
	v_fma_f32 v6, v30, s6, -v59
	v_add_f32_e32 v5, v60, v5
	v_fmac_f32_e32 v4, 0x3eedf032, v15
	v_add_f32_e32 v3, v6, v3
	v_fma_f32 v6, v32, s11, -v61
	v_add_f32_e32 v4, v4, v5
	v_mul_f32_e32 v5, 0xbe750f2a, v44
	v_add_f32_e32 v3, v6, v3
	v_mov_b32_e32 v6, v5
	v_fmac_f32_e32 v6, 0xbf788fa5, v41
	v_mul_f32_e32 v14, 0x3f6f5d39, v36
	v_fmac_f32_e32 v22, 0xbeedf032, v15
	v_add_f32_e32 v6, v6, v8
	v_mul_f32_e32 v8, 0xbf788fa5, v42
	v_mov_b32_e32 v28, v14
	v_add_f32_e32 v22, v22, v13
	v_mov_b32_e32 v13, v8
	v_fmac_f32_e32 v28, 0xbeb58ec6, v27
	v_mul_f32_e32 v45, 0xbeb58ec6, v34
	v_fmac_f32_e32 v13, 0x3e750f2a, v43
	v_add_f32_e32 v6, v28, v6
	v_mov_b32_e32 v28, v45
	v_add_f32_e32 v13, v13, v46
	v_fmac_f32_e32 v28, 0xbf6f5d39, v35
	v_mul_f32_e32 v46, 0x3eedf032, v40
	v_add_f32_e32 v13, v28, v13
	v_mov_b32_e32 v28, v46
	v_fmac_f32_e32 v28, 0x3f62ad3f, v37
	v_mul_f32_e32 v58, 0x3f62ad3f, v38
	v_add_f32_e32 v6, v28, v6
	v_mov_b32_e32 v28, v58
	;; [unrolled: 4-line block ×5, first 2 shown]
	v_fmac_f32_e32 v28, 0xbf3f9e67, v32
	v_fma_f32 v5, v41, s13, -v5
	v_fmac_f32_e32 v8, 0xbe750f2a, v43
	v_add_f32_e32 v28, v28, v6
	v_mul_f32_e32 v6, 0xbf3f9e67, v33
	v_add_f32_e32 v5, v5, v7
	v_add_f32_e32 v7, v8, v47
	v_fmac_f32_e32 v45, 0x3f6f5d39, v35
	v_mov_b32_e32 v29, v6
	v_add_f32_e32 v7, v45, v7
	v_fmac_f32_e32 v58, 0x3eedf032, v39
	v_fmac_f32_e32 v29, 0x3f29c268, v15
	v_add_f32_e32 v7, v58, v7
	v_fmac_f32_e32 v60, 0xbf52af12, v19
	v_add_f32_e32 v29, v29, v13
	v_fma_f32 v8, v27, s7, -v14
	v_add_f32_e32 v7, v60, v7
	v_fmac_f32_e32 v6, 0xbf29c268, v15
	v_mul_f32_e32 v13, 0x3f29c268, v44
	v_add_f32_e32 v5, v8, v5
	v_fma_f32 v8, v37, s11, -v46
	v_add_f32_e32 v6, v6, v7
	v_mov_b32_e32 v7, v13
	v_mul_f32_e32 v14, 0x3eedf032, v36
	v_add_f32_e32 v5, v8, v5
	v_fma_f32 v8, v30, s10, -v59
	v_fmac_f32_e32 v7, 0xbf3f9e67, v41
	v_mov_b32_e32 v45, v14
	v_add_f32_e32 v5, v8, v5
	v_fma_f32 v8, v32, s12, -v61
	v_add_f32_e32 v7, v7, v10
	v_mul_f32_e32 v10, 0xbf3f9e67, v42
	v_fmac_f32_e32 v45, 0x3f62ad3f, v27
	v_add_f32_e32 v5, v8, v5
	v_mov_b32_e32 v8, v10
	v_add_f32_e32 v7, v45, v7
	v_mul_f32_e32 v45, 0x3f62ad3f, v34
	v_fmac_f32_e32 v8, 0xbf29c268, v43
	v_mov_b32_e32 v46, v45
	v_add_f32_e32 v8, v8, v48
	v_fmac_f32_e32 v46, 0xbeedf032, v35
	v_add_f32_e32 v8, v46, v8
	v_mul_f32_e32 v46, 0xbf7e222b, v40
	v_mov_b32_e32 v47, v46
	v_fmac_f32_e32 v47, 0x3df6dbef, v37
	v_add_f32_e32 v7, v47, v7
	v_mul_f32_e32 v47, 0x3df6dbef, v38
	v_mov_b32_e32 v48, v47
	;; [unrolled: 4-line block ×3, first 2 shown]
	v_fmac_f32_e32 v58, 0xbf788fa5, v30
	v_add_f32_e32 v7, v58, v7
	v_mul_f32_e32 v58, 0xbf788fa5, v31
	v_fma_f32 v13, v41, s12, -v13
	v_mov_b32_e32 v59, v58
	v_add_f32_e32 v9, v13, v9
	v_fma_f32 v13, v27, s11, -v14
	v_fmac_f32_e32 v59, 0xbe750f2a, v19
	v_fmac_f32_e32 v10, 0x3f29c268, v43
	v_add_f32_e32 v9, v13, v9
	v_fma_f32 v13, v37, s6, -v46
	v_add_f32_e32 v8, v59, v8
	v_mul_f32_e32 v59, 0x3f52af12, v16
	v_add_f32_e32 v10, v10, v49
	v_fmac_f32_e32 v45, 0x3eedf032, v35
	v_add_f32_e32 v9, v13, v9
	v_fma_f32 v13, v30, s13, -v48
	v_add_f32_e32 v10, v45, v10
	v_fmac_f32_e32 v47, 0xbf7e222b, v39
	v_add_f32_e32 v9, v13, v9
	v_fma_f32 v13, v32, s10, -v59
	v_mul_f32_e32 v45, 0x3f7e222b, v44
	v_add_f32_e32 v10, v47, v10
	v_add_f32_e32 v9, v13, v9
	v_mov_b32_e32 v13, v45
	v_mul_f32_e32 v47, 0xbf52af12, v36
	v_fmac_f32_e32 v13, 0x3df6dbef, v41
	v_mov_b32_e32 v48, v47
	v_add_f32_e32 v13, v13, v50
	v_mul_f32_e32 v46, 0x3df6dbef, v42
	v_fmac_f32_e32 v48, 0x3f116cb1, v27
	v_mov_b32_e32 v14, v46
	v_add_f32_e32 v13, v48, v13
	;; [unrolled: 4-line block ×3, first 2 shown]
	v_fmac_f32_e32 v49, 0x3f52af12, v35
	v_add_f32_e32 v14, v49, v14
	v_mul_f32_e32 v49, 0x3e750f2a, v40
	v_mov_b32_e32 v50, v49
	v_fmac_f32_e32 v50, 0xbf788fa5, v37
	v_add_f32_e32 v13, v50, v13
	v_mul_f32_e32 v50, 0xbf788fa5, v38
	v_mov_b32_e32 v52, v50
	v_fmac_f32_e32 v52, 0xbe750f2a, v39
	v_fmac_f32_e32 v58, 0x3e750f2a, v19
	v_add_f32_e32 v14, v52, v14
	v_mul_f32_e32 v52, 0x3eedf032, v20
	v_add_f32_e32 v10, v58, v10
	v_mov_b32_e32 v58, v52
	v_fma_f32 v45, v41, s6, -v45
	v_mul_f32_e32 v42, 0x3f62ad3f, v42
	v_fmac_f32_e32 v58, 0x3f62ad3f, v30
	v_add_f32_e32 v45, v45, v54
	v_fmac_f32_e32 v46, 0x3f7e222b, v43
	v_mul_f32_e32 v44, 0x3eedf032, v44
	v_mov_b32_e32 v54, v42
	v_mov_b32_e32 v60, v59
	v_add_f32_e32 v13, v58, v13
	v_mul_f32_e32 v58, 0x3f62ad3f, v31
	v_add_f32_e32 v46, v46, v51
	v_mov_b32_e32 v51, v44
	v_fmac_f32_e32 v54, 0xbeedf032, v43
	v_fmac_f32_e32 v42, 0x3eedf032, v43
	v_fma_f32 v43, v27, s10, -v47
	v_mul_f32_e32 v36, 0xbf29c268, v36
	v_fmac_f32_e32 v60, 0x3f116cb1, v32
	v_mov_b32_e32 v59, v58
	v_fmac_f32_e32 v51, 0x3f62ad3f, v41
	v_fma_f32 v41, v41, s11, -v44
	v_add_f32_e32 v43, v43, v45
	v_mov_b32_e32 v45, v36
	v_add_f32_e32 v7, v60, v7
	v_mul_f32_e32 v60, 0x3f116cb1, v33
	v_fmac_f32_e32 v59, 0xbeedf032, v19
	v_add_f32_e32 v41, v41, v56
	v_fmac_f32_e32 v48, 0xbf52af12, v35
	v_fmac_f32_e32 v45, 0xbf3f9e67, v27
	v_mul_f32_e32 v34, 0xbf3f9e67, v34
	v_fma_f32 v27, v27, s12, -v36
	v_mul_f32_e32 v40, 0x3f52af12, v40
	v_mov_b32_e32 v61, v60
	v_fmac_f32_e32 v60, 0x3f52af12, v15
	v_add_f32_e32 v14, v59, v14
	v_mul_f32_e32 v59, 0xbf6f5d39, v16
	v_add_f32_e32 v44, v48, v46
	v_mov_b32_e32 v46, v34
	v_add_f32_e32 v27, v27, v41
	v_mov_b32_e32 v41, v40
	;; [unrolled: 2-line block ×3, first 2 shown]
	v_add_f32_e32 v42, v42, v57
	v_fmac_f32_e32 v46, 0x3f29c268, v35
	v_fmac_f32_e32 v34, 0xbf29c268, v35
	v_fma_f32 v35, v37, s13, -v49
	v_fmac_f32_e32 v41, 0x3f116cb1, v37
	v_mul_f32_e32 v38, 0x3f116cb1, v38
	v_fma_f32 v37, v37, s10, -v40
	v_fmac_f32_e32 v60, 0xbeb58ec6, v32
	v_add_f32_e32 v51, v51, v55
	v_add_f32_e32 v53, v54, v53
	;; [unrolled: 1-line block ×4, first 2 shown]
	v_mov_b32_e32 v42, v38
	v_add_f32_e32 v27, v37, v27
	v_fmac_f32_e32 v38, 0x3f52af12, v39
	v_fma_f32 v37, v30, s11, -v52
	v_mul_f32_e32 v20, 0xbf6f5d39, v20
	v_mul_f32_e32 v31, 0xbeb58ec6, v31
	v_fmac_f32_e32 v61, 0xbf52af12, v15
	v_add_f32_e32 v13, v60, v13
	v_mul_f32_e32 v60, 0xbeb58ec6, v33
	v_add_f32_e32 v45, v45, v51
	v_add_f32_e32 v46, v46, v53
	v_fmac_f32_e32 v50, 0x3e750f2a, v39
	v_fmac_f32_e32 v42, 0xbf52af12, v39
	v_add_f32_e32 v34, v38, v34
	v_add_f32_e32 v35, v37, v35
	v_mov_b32_e32 v37, v20
	v_mov_b32_e32 v38, v31
	v_fmac_f32_e32 v31, 0xbf6f5d39, v19
	v_mul_f32_e32 v16, 0x3f7e222b, v16
	v_mul_f32_e32 v33, 0x3df6dbef, v33
	v_add_f32_e32 v8, v61, v8
	v_mov_b32_e32 v61, v60
	v_add_f32_e32 v36, v50, v44
	v_add_f32_e32 v41, v41, v45
	;; [unrolled: 1-line block ×3, first 2 shown]
	v_fmac_f32_e32 v58, 0x3eedf032, v19
	v_fmac_f32_e32 v37, 0xbeb58ec6, v30
	;; [unrolled: 1-line block ×3, first 2 shown]
	v_fma_f32 v20, v30, s7, -v20
	v_add_f32_e32 v34, v31, v34
	v_mov_b32_e32 v30, v16
	v_mov_b32_e32 v31, v33
	s_movk_i32 s14, 0x68
	v_fmac_f32_e32 v62, 0xbe750f2a, v15
	v_fmac_f32_e32 v61, 0x3f6f5d39, v15
	v_add_f32_e32 v36, v58, v36
	v_add_f32_e32 v37, v37, v41
	;; [unrolled: 1-line block ×4, first 2 shown]
	v_fma_f32 v19, v32, s7, -v59
	v_fmac_f32_e32 v60, 0xbf6f5d39, v15
	v_fmac_f32_e32 v30, 0x3df6dbef, v32
	v_fmac_f32_e32 v31, 0xbf7e222b, v15
	v_fma_f32 v16, v32, s6, -v16
	v_fmac_f32_e32 v33, 0x3f7e222b, v15
	v_mad_u32_u24 v15, v25, s14, v26
	v_add_f32_e32 v2, v62, v2
	v_add_f32_e32 v14, v61, v14
	;; [unrolled: 1-line block ×8, first 2 shown]
	s_barrier
	ds_write2_b64 v15, v[11:12], v[17:18] offset1:1
	ds_write2_b64 v15, v[21:22], v[28:29] offset0:2 offset1:3
	ds_write2_b64 v15, v[7:8], v[13:14] offset0:4 offset1:5
	;; [unrolled: 1-line block ×5, first 2 shown]
	ds_write_b64 v15, v[1:2] offset:96
	v_mul_u32_u24_e32 v1, 12, v25
	v_lshlrev_b32_e32 v5, 3, v1
	s_waitcnt lgkmcnt(0)
	s_barrier
	global_load_dwordx4 v[1:4], v5, s[8:9]
	global_load_dwordx4 v[8:11], v5, s[8:9] offset:32
	global_load_dwordx4 v[12:15], v5, s[8:9] offset:48
	;; [unrolled: 1-line block ×5, first 2 shown]
	ds_read2_b64 v[33:36], v23 offset0:13 offset1:26
	ds_read2_b64 v[37:40], v23 offset0:65 offset1:78
	s_waitcnt vmcnt(5) lgkmcnt(1)
	v_mul_f32_e32 v41, v2, v34
	v_mul_f32_e32 v2, v2, v33
	v_fmac_f32_e32 v41, v1, v33
	v_fma_f32 v42, v1, v34, -v2
	v_mul_f32_e32 v43, v4, v36
	v_mul_f32_e32 v1, v4, v35
	v_fmac_f32_e32 v43, v3, v35
	v_fma_f32 v44, v3, v36, -v1
	s_waitcnt vmcnt(4) lgkmcnt(0)
	v_mul_f32_e32 v7, v38, v9
	v_mul_f32_e32 v1, v37, v9
	ds_read2_b64 v[33:36], v23 offset0:91 offset1:104
	v_fmac_f32_e32 v7, v37, v8
	v_fma_f32 v8, v38, v8, -v1
	v_mul_f32_e32 v3, v40, v11
	v_mul_f32_e32 v1, v39, v11
	v_fmac_f32_e32 v3, v39, v10
	v_fma_f32 v4, v40, v10, -v1
	ds_read2_b64 v[37:40], v23 offset0:117 offset1:130
	s_waitcnt vmcnt(3) lgkmcnt(1)
	v_mul_f32_e32 v1, v33, v13
	v_fma_f32 v6, v34, v12, -v1
	v_mul_f32_e32 v1, v35, v15
	v_mul_f32_e32 v5, v34, v13
	v_fma_f32 v10, v36, v14, -v1
	s_waitcnt vmcnt(2) lgkmcnt(0)
	v_mul_f32_e32 v1, v37, v17
	v_fmac_f32_e32 v5, v33, v12
	v_fma_f32 v12, v38, v16, -v1
	ds_read_b64 v[1:2], v23 offset:312
	v_mul_f32_e32 v11, v38, v17
	v_mul_f32_e32 v33, v40, v19
	;; [unrolled: 1-line block ×4, first 2 shown]
	v_fmac_f32_e32 v11, v37, v16
	v_fmac_f32_e32 v33, v39, v18
	v_fma_f32 v34, v40, v18, -v13
	ds_read2_b32 v[19:20], v23 offset0:104 offset1:105
	ds_read2_b64 v[15:18], v23 offset0:143 offset1:156
	ds_read_b64 v[21:22], v24
	s_waitcnt vmcnt(1) lgkmcnt(3)
	v_mul_f32_e32 v24, v26, v2
	v_fmac_f32_e32 v24, v25, v1
	v_mul_f32_e32 v1, v26, v1
	v_fma_f32 v25, v25, v2, -v1
	s_waitcnt lgkmcnt(0)
	v_add_f32_e32 v2, v42, v22
	v_mul_f32_e32 v13, v20, v28
	v_mul_f32_e32 v1, v28, v19
	v_add_f32_e32 v2, v2, v44
	v_fmac_f32_e32 v9, v35, v14
	v_fmac_f32_e32 v13, v27, v19
	v_fma_f32 v14, v20, v27, -v1
	s_waitcnt vmcnt(0)
	v_mul_f32_e32 v19, v16, v30
	v_mul_f32_e32 v1, v15, v30
	v_add_f32_e32 v2, v2, v25
	v_fmac_f32_e32 v19, v15, v29
	v_fma_f32 v15, v16, v29, -v1
	v_mul_f32_e32 v16, v18, v32
	v_mul_f32_e32 v1, v17, v32
	v_add_f32_e32 v2, v2, v14
	v_fmac_f32_e32 v16, v17, v31
	v_fma_f32 v17, v18, v31, -v1
	v_add_f32_e32 v1, v41, v21
	v_add_f32_e32 v2, v2, v8
	;; [unrolled: 1-line block ×17, first 2 shown]
	v_sub_f32_e32 v17, v42, v17
	v_add_f32_e32 v1, v1, v11
	v_mul_f32_e32 v26, 0xbeedf032, v17
	v_mul_f32_e32 v28, 0xbf52af12, v17
	;; [unrolled: 1-line block ×6, first 2 shown]
	v_add_f32_e32 v1, v1, v33
	v_add_f32_e32 v18, v41, v16
	v_mov_b32_e32 v27, v26
	v_mov_b32_e32 v29, v28
	v_mov_b32_e32 v31, v30
	v_mov_b32_e32 v35, v32
	v_mov_b32_e32 v37, v36
	v_mov_b32_e32 v38, v17
	v_add_f32_e32 v1, v1, v19
	v_fmac_f32_e32 v27, 0x3f62ad3f, v18
	v_fma_f32 v26, v18, s11, -v26
	v_fmac_f32_e32 v29, 0x3f116cb1, v18
	v_fma_f32 v28, v18, s10, -v28
	;; [unrolled: 2-line block ×6, first 2 shown]
	v_mul_f32_e32 v18, 0x3f62ad3f, v20
	v_mul_f32_e32 v40, 0x3f116cb1, v20
	v_mul_f32_e32 v42, 0x3df6dbef, v20
	v_mul_f32_e32 v46, 0xbeb58ec6, v20
	v_mul_f32_e32 v48, 0xbf3f9e67, v20
	v_mul_f32_e32 v20, 0xbf788fa5, v20
	v_add_f32_e32 v1, v1, v16
	v_sub_f32_e32 v16, v41, v16
	v_mov_b32_e32 v39, v18
	v_mov_b32_e32 v41, v40
	;; [unrolled: 1-line block ×6, first 2 shown]
	v_fmac_f32_e32 v39, 0x3eedf032, v16
	v_fmac_f32_e32 v18, 0xbeedf032, v16
	;; [unrolled: 1-line block ×12, first 2 shown]
	v_add_f32_e32 v16, v27, v21
	v_add_f32_e32 v27, v39, v22
	v_add_f32_e32 v18, v18, v22
	v_add_f32_e32 v39, v41, v22
	v_add_f32_e32 v40, v40, v22
	v_add_f32_e32 v41, v45, v22
	v_add_f32_e32 v42, v42, v22
	v_add_f32_e32 v45, v47, v22
	v_add_f32_e32 v46, v46, v22
	v_add_f32_e32 v47, v49, v22
	v_add_f32_e32 v48, v48, v22
	v_add_f32_e32 v49, v50, v22
	v_add_f32_e32 v20, v20, v22
	v_add_f32_e32 v22, v44, v15
	v_sub_f32_e32 v15, v44, v15
	v_add_f32_e32 v26, v26, v21
	v_add_f32_e32 v29, v29, v21
	;; [unrolled: 1-line block ×12, first 2 shown]
	v_sub_f32_e32 v19, v43, v19
	v_mul_f32_e32 v43, 0xbf52af12, v15
	v_mov_b32_e32 v44, v43
	v_fmac_f32_e32 v44, 0x3f116cb1, v21
	v_add_f32_e32 v16, v44, v16
	v_mul_f32_e32 v44, 0x3f116cb1, v22
	v_fma_f32 v43, v21, s10, -v43
	v_mov_b32_e32 v50, v44
	v_add_f32_e32 v26, v43, v26
	v_fmac_f32_e32 v44, 0xbf52af12, v19
	v_mul_f32_e32 v43, 0xbf6f5d39, v15
	v_add_f32_e32 v18, v44, v18
	v_mov_b32_e32 v44, v43
	v_fmac_f32_e32 v44, 0xbeb58ec6, v21
	v_fmac_f32_e32 v50, 0x3f52af12, v19
	v_add_f32_e32 v29, v44, v29
	v_mul_f32_e32 v44, 0xbeb58ec6, v22
	v_fma_f32 v43, v21, s7, -v43
	v_add_f32_e32 v27, v50, v27
	v_mov_b32_e32 v50, v44
	v_add_f32_e32 v28, v43, v28
	v_fmac_f32_e32 v44, 0xbf6f5d39, v19
	v_mul_f32_e32 v43, 0xbe750f2a, v15
	v_add_f32_e32 v40, v44, v40
	v_mov_b32_e32 v44, v43
	v_fmac_f32_e32 v44, 0xbf788fa5, v21
	v_fmac_f32_e32 v50, 0x3f6f5d39, v19
	v_add_f32_e32 v31, v44, v31
	v_mul_f32_e32 v44, 0xbf788fa5, v22
	v_fma_f32 v43, v21, s13, -v43
	v_add_f32_e32 v39, v50, v39
	v_mov_b32_e32 v50, v44
	v_add_f32_e32 v30, v43, v30
	v_fmac_f32_e32 v44, 0xbe750f2a, v19
	v_mul_f32_e32 v43, 0x3f29c268, v15
	v_add_f32_e32 v42, v44, v42
	v_mov_b32_e32 v44, v43
	v_fmac_f32_e32 v44, 0xbf3f9e67, v21
	v_fmac_f32_e32 v50, 0x3e750f2a, v19
	v_add_f32_e32 v35, v44, v35
	v_mul_f32_e32 v44, 0xbf3f9e67, v22
	v_add_f32_e32 v41, v50, v41
	v_mov_b32_e32 v50, v44
	v_fma_f32 v43, v21, s12, -v43
	v_fmac_f32_e32 v44, 0x3f29c268, v19
	v_add_f32_e32 v32, v43, v32
	v_add_f32_e32 v43, v44, v46
	v_mul_f32_e32 v44, 0x3f7e222b, v15
	v_mov_b32_e32 v46, v44
	v_fmac_f32_e32 v46, 0x3df6dbef, v21
	v_fmac_f32_e32 v50, 0xbf29c268, v19
	v_add_f32_e32 v37, v46, v37
	v_mul_f32_e32 v46, 0x3df6dbef, v22
	v_add_f32_e32 v45, v50, v45
	v_mov_b32_e32 v50, v46
	v_fma_f32 v44, v21, s6, -v44
	v_fmac_f32_e32 v46, 0x3f7e222b, v19
	v_mul_f32_e32 v15, 0x3eedf032, v15
	v_add_f32_e32 v36, v44, v36
	v_add_f32_e32 v44, v46, v48
	v_mov_b32_e32 v46, v15
	v_fmac_f32_e32 v46, 0x3f62ad3f, v21
	v_mul_f32_e32 v22, 0x3f62ad3f, v22
	v_add_f32_e32 v38, v46, v38
	v_mov_b32_e32 v46, v22
	v_fma_f32 v15, v21, s11, -v15
	v_fmac_f32_e32 v22, 0x3eedf032, v19
	v_add_f32_e32 v15, v15, v17
	v_add_f32_e32 v17, v22, v20
	v_sub_f32_e32 v22, v25, v34
	v_fmac_f32_e32 v50, 0xbf7e222b, v19
	v_fmac_f32_e32 v46, 0xbeedf032, v19
	v_add_f32_e32 v19, v24, v33
	v_sub_f32_e32 v20, v24, v33
	v_mul_f32_e32 v24, 0xbf7e222b, v22
	v_add_f32_e32 v21, v25, v34
	v_mov_b32_e32 v25, v24
	v_fmac_f32_e32 v25, 0x3df6dbef, v19
	v_add_f32_e32 v16, v25, v16
	v_mul_f32_e32 v25, 0x3df6dbef, v21
	v_mov_b32_e32 v33, v25
	v_fmac_f32_e32 v25, 0xbf7e222b, v20
	v_fma_f32 v24, v19, s6, -v24
	v_add_f32_e32 v18, v25, v18
	v_mul_f32_e32 v25, 0xbe750f2a, v22
	v_add_f32_e32 v24, v24, v26
	v_mov_b32_e32 v26, v25
	v_fmac_f32_e32 v26, 0xbf788fa5, v19
	v_fmac_f32_e32 v33, 0x3f7e222b, v20
	v_add_f32_e32 v26, v26, v29
	v_mul_f32_e32 v29, 0xbf788fa5, v21
	v_add_f32_e32 v27, v33, v27
	v_mov_b32_e32 v33, v29
	v_fma_f32 v25, v19, s13, -v25
	v_fmac_f32_e32 v29, 0xbe750f2a, v20
	v_add_f32_e32 v25, v25, v28
	v_add_f32_e32 v28, v29, v40
	v_mul_f32_e32 v29, 0x3f6f5d39, v22
	v_mov_b32_e32 v34, v29
	v_fmac_f32_e32 v34, 0xbeb58ec6, v19
	v_fmac_f32_e32 v33, 0x3e750f2a, v20
	v_add_f32_e32 v31, v34, v31
	v_mul_f32_e32 v34, 0xbeb58ec6, v21
	v_add_f32_e32 v33, v33, v39
	v_mov_b32_e32 v39, v34
	v_fma_f32 v29, v19, s7, -v29
	v_fmac_f32_e32 v34, 0x3f6f5d39, v20
	v_add_f32_e32 v29, v29, v30
	v_add_f32_e32 v30, v34, v42
	v_mul_f32_e32 v34, 0x3eedf032, v22
	;; [unrolled: 12-line block ×3, first 2 shown]
	v_mov_b32_e32 v42, v40
	v_fmac_f32_e32 v42, 0x3f116cb1, v19
	v_add_f32_e32 v37, v42, v37
	v_mul_f32_e32 v42, 0x3f116cb1, v21
	v_mov_b32_e32 v43, v42
	v_fma_f32 v40, v19, s10, -v40
	v_fmac_f32_e32 v42, 0xbf52af12, v20
	v_mul_f32_e32 v22, 0xbf29c268, v22
	v_add_f32_e32 v36, v40, v36
	v_add_f32_e32 v40, v42, v44
	v_mov_b32_e32 v42, v22
	v_fmac_f32_e32 v42, 0xbf3f9e67, v19
	v_fma_f32 v19, v19, s12, -v22
	v_mul_f32_e32 v21, 0xbf3f9e67, v21
	v_add_f32_e32 v15, v19, v15
	v_add_f32_e32 v19, v13, v11
	v_sub_f32_e32 v11, v13, v11
	v_add_f32_e32 v13, v14, v12
	v_sub_f32_e32 v12, v14, v12
	v_add_f32_e32 v38, v42, v38
	v_mov_b32_e32 v42, v21
	v_mul_f32_e32 v14, 0xbf6f5d39, v12
	v_fmac_f32_e32 v41, 0xbeedf032, v20
	v_fmac_f32_e32 v43, 0x3f52af12, v20
	;; [unrolled: 1-line block ×4, first 2 shown]
	v_mov_b32_e32 v20, v14
	v_fmac_f32_e32 v20, 0xbeb58ec6, v19
	v_add_f32_e32 v16, v20, v16
	v_mul_f32_e32 v20, 0xbeb58ec6, v13
	v_add_f32_e32 v17, v21, v17
	v_mov_b32_e32 v21, v20
	v_fmac_f32_e32 v20, 0xbf6f5d39, v11
	v_add_f32_e32 v18, v20, v18
	v_mul_f32_e32 v20, 0x3f29c268, v12
	v_fma_f32 v14, v19, s7, -v14
	v_mov_b32_e32 v22, v20
	v_fma_f32 v20, v19, s12, -v20
	v_fmac_f32_e32 v21, 0x3f6f5d39, v11
	v_add_f32_e32 v14, v14, v24
	v_fmac_f32_e32 v22, 0xbf3f9e67, v19
	v_mul_f32_e32 v24, 0xbf3f9e67, v13
	v_add_f32_e32 v20, v20, v25
	v_mul_f32_e32 v25, 0x3eedf032, v12
	v_add_f32_e32 v21, v21, v27
	v_add_f32_e32 v22, v22, v26
	v_mov_b32_e32 v26, v24
	v_fmac_f32_e32 v24, 0x3f29c268, v11
	v_mov_b32_e32 v27, v25
	v_add_f32_e32 v24, v24, v28
	v_fmac_f32_e32 v27, 0x3f62ad3f, v19
	v_mul_f32_e32 v28, 0x3f62ad3f, v13
	v_fma_f32 v25, v19, s11, -v25
	v_add_f32_e32 v27, v27, v31
	v_mov_b32_e32 v31, v28
	v_add_f32_e32 v25, v25, v29
	v_fmac_f32_e32 v28, 0x3eedf032, v11
	v_mul_f32_e32 v29, 0xbf7e222b, v12
	v_fmac_f32_e32 v26, 0xbf29c268, v11
	v_add_f32_e32 v28, v28, v30
	v_mov_b32_e32 v30, v29
	v_add_f32_e32 v26, v26, v33
	v_fmac_f32_e32 v30, 0x3df6dbef, v19
	v_mul_f32_e32 v33, 0x3df6dbef, v13
	v_add_f32_e32 v30, v30, v35
	v_mov_b32_e32 v35, v33
	v_fma_f32 v29, v19, s6, -v29
	v_fmac_f32_e32 v33, 0xbf7e222b, v11
	v_add_f32_e32 v29, v29, v32
	v_add_f32_e32 v32, v33, v34
	v_mul_f32_e32 v33, 0x3e750f2a, v12
	v_mov_b32_e32 v34, v33
	v_fmac_f32_e32 v34, 0xbf788fa5, v19
	v_fmac_f32_e32 v31, 0xbeedf032, v11
	v_add_f32_e32 v34, v34, v37
	v_mul_f32_e32 v37, 0xbf788fa5, v13
	v_add_f32_e32 v31, v31, v39
	v_mov_b32_e32 v39, v37
	v_fma_f32 v33, v19, s13, -v33
	v_fmac_f32_e32 v37, 0x3e750f2a, v11
	v_mul_f32_e32 v12, 0x3f52af12, v12
	v_add_f32_e32 v33, v33, v36
	v_add_f32_e32 v36, v37, v40
	v_mov_b32_e32 v37, v12
	v_fmac_f32_e32 v37, 0x3f116cb1, v19
	v_mul_f32_e32 v13, 0x3f116cb1, v13
	v_add_f32_e32 v37, v37, v38
	v_mov_b32_e32 v38, v13
	v_fmac_f32_e32 v13, 0x3f52af12, v11
	v_fmac_f32_e32 v35, 0x3f7e222b, v11
	;; [unrolled: 1-line block ×4, first 2 shown]
	v_add_f32_e32 v11, v13, v17
	v_add_f32_e32 v13, v7, v9
	v_sub_f32_e32 v7, v7, v9
	v_add_f32_e32 v9, v8, v10
	v_sub_f32_e32 v8, v8, v10
	v_fma_f32 v12, v19, s10, -v12
	v_mul_f32_e32 v10, 0xbf29c268, v8
	v_add_f32_e32 v12, v12, v15
	v_mov_b32_e32 v15, v10
	v_fmac_f32_e32 v15, 0xbf3f9e67, v13
	v_add_f32_e32 v15, v15, v16
	v_mul_f32_e32 v16, 0xbf3f9e67, v9
	v_fma_f32 v10, v13, s12, -v10
	v_mov_b32_e32 v17, v16
	v_add_f32_e32 v10, v10, v14
	v_fmac_f32_e32 v16, 0xbf29c268, v7
	v_mul_f32_e32 v14, 0x3f7e222b, v8
	v_add_f32_e32 v16, v16, v18
	v_mov_b32_e32 v18, v14
	v_fma_f32 v14, v13, s6, -v14
	v_fmac_f32_e32 v17, 0x3f29c268, v7
	v_fmac_f32_e32 v18, 0x3df6dbef, v13
	v_mul_f32_e32 v19, 0x3df6dbef, v9
	v_add_f32_e32 v20, v14, v20
	v_mul_f32_e32 v14, 0xbf52af12, v8
	v_add_f32_e32 v17, v17, v21
	v_add_f32_e32 v18, v18, v22
	v_mov_b32_e32 v21, v19
	v_fmac_f32_e32 v19, 0x3f7e222b, v7
	v_mov_b32_e32 v22, v14
	v_fma_f32 v14, v13, s10, -v14
	v_fmac_f32_e32 v21, 0xbf7e222b, v7
	v_add_f32_e32 v19, v19, v24
	v_fmac_f32_e32 v22, 0x3f116cb1, v13
	v_mul_f32_e32 v24, 0x3f116cb1, v9
	v_add_f32_e32 v25, v14, v25
	v_mul_f32_e32 v14, 0x3e750f2a, v8
	v_add_f32_e32 v21, v21, v26
	v_add_f32_e32 v22, v22, v27
	v_mov_b32_e32 v26, v24
	v_fmac_f32_e32 v24, 0xbf52af12, v7
	v_mov_b32_e32 v27, v14
	v_fma_f32 v14, v13, s13, -v14
	v_fmac_f32_e32 v26, 0x3f52af12, v7
	v_add_f32_e32 v24, v24, v28
	v_fmac_f32_e32 v27, 0xbf788fa5, v13
	v_mul_f32_e32 v28, 0xbf788fa5, v9
	v_add_f32_e32 v29, v14, v29
	v_mul_f32_e32 v14, 0x3eedf032, v8
	v_add_f32_e32 v26, v26, v31
	v_add_f32_e32 v27, v27, v30
	v_mov_b32_e32 v30, v28
	v_fmac_f32_e32 v28, 0x3e750f2a, v7
	v_mov_b32_e32 v31, v14
	v_add_f32_e32 v47, v50, v47
	v_add_f32_e32 v46, v46, v49
	;; [unrolled: 1-line block ×3, first 2 shown]
	v_fmac_f32_e32 v31, 0x3f62ad3f, v13
	v_mul_f32_e32 v32, 0x3f62ad3f, v9
	v_add_f32_e32 v43, v43, v47
	v_add_f32_e32 v42, v42, v46
	;; [unrolled: 1-line block ×3, first 2 shown]
	v_mov_b32_e32 v34, v32
	v_add_f32_e32 v41, v41, v45
	v_add_f32_e32 v39, v39, v43
	;; [unrolled: 1-line block ×3, first 2 shown]
	v_fmac_f32_e32 v34, 0xbeedf032, v7
	v_sub_f32_e32 v42, v4, v6
	v_add_f32_e32 v35, v35, v41
	v_add_f32_e32 v34, v34, v39
	;; [unrolled: 1-line block ×3, first 2 shown]
	v_sub_f32_e32 v41, v3, v5
	v_mul_f32_e32 v3, 0xbe750f2a, v42
	v_fma_f32 v14, v13, s11, -v14
	v_mul_f32_e32 v8, 0xbf6f5d39, v8
	v_add_f32_e32 v40, v4, v6
	v_mov_b32_e32 v4, v3
	v_add_f32_e32 v33, v14, v33
	v_mov_b32_e32 v14, v8
	v_fmac_f32_e32 v4, 0xbf788fa5, v39
	v_fmac_f32_e32 v30, 0xbe750f2a, v7
	v_fmac_f32_e32 v14, 0xbeb58ec6, v13
	v_mul_f32_e32 v9, 0xbeb58ec6, v9
	v_fma_f32 v8, v13, s7, -v8
	v_add_f32_e32 v13, v4, v15
	v_mul_f32_e32 v4, 0xbf788fa5, v40
	v_add_f32_e32 v30, v30, v35
	v_add_f32_e32 v35, v14, v37
	v_mov_b32_e32 v14, v9
	v_mov_b32_e32 v5, v4
	v_fmac_f32_e32 v32, 0x3eedf032, v7
	v_fmac_f32_e32 v14, 0x3f6f5d39, v7
	;; [unrolled: 1-line block ×3, first 2 shown]
	v_add_f32_e32 v32, v32, v36
	v_add_f32_e32 v36, v14, v38
	;; [unrolled: 1-line block ×3, first 2 shown]
	v_mul_f32_e32 v5, 0x3eedf032, v42
	v_mov_b32_e32 v6, v5
	v_fmac_f32_e32 v9, 0xbf6f5d39, v7
	v_fmac_f32_e32 v6, 0x3f62ad3f, v39
	v_add_f32_e32 v38, v9, v11
	v_add_f32_e32 v9, v6, v18
	v_mul_f32_e32 v6, 0x3f62ad3f, v40
	v_mov_b32_e32 v7, v6
	v_fma_f32 v3, v39, s13, -v3
	v_fmac_f32_e32 v7, 0xbeedf032, v41
	v_add_f32_e32 v3, v3, v10
	v_add_f32_e32 v10, v7, v21
	v_mul_f32_e32 v7, 0xbf29c268, v42
	v_add_f32_e32 v37, v8, v12
	v_mov_b32_e32 v8, v7
	v_fmac_f32_e32 v8, 0xbf3f9e67, v39
	v_add_f32_e32 v11, v8, v22
	v_mul_f32_e32 v8, 0xbf3f9e67, v40
	v_mul_f32_e32 v17, 0x3f52af12, v42
	v_mov_b32_e32 v12, v8
	v_mov_b32_e32 v15, v17
	v_fmac_f32_e32 v12, 0x3f29c268, v41
	v_fmac_f32_e32 v15, 0x3f116cb1, v39
	;; [unrolled: 1-line block ×3, first 2 shown]
	v_fma_f32 v5, v39, s11, -v5
	v_fmac_f32_e32 v6, 0x3eedf032, v41
	v_add_f32_e32 v12, v12, v26
	v_fma_f32 v7, v39, s12, -v7
	v_fmac_f32_e32 v8, 0xbf29c268, v41
	v_add_f32_e32 v15, v15, v27
	v_mul_f32_e32 v18, 0x3f116cb1, v40
	v_mul_f32_e32 v21, 0xbf6f5d39, v42
	;; [unrolled: 1-line block ×5, first 2 shown]
	v_add_f32_e32 v4, v4, v16
	v_add_f32_e32 v5, v5, v20
	;; [unrolled: 1-line block ×5, first 2 shown]
	v_mov_b32_e32 v16, v18
	v_mov_b32_e32 v19, v21
	;; [unrolled: 1-line block ×5, first 2 shown]
	v_fmac_f32_e32 v16, 0xbf52af12, v41
	v_fma_f32 v17, v39, s10, -v17
	v_fmac_f32_e32 v18, 0x3f52af12, v41
	v_fmac_f32_e32 v19, 0xbeb58ec6, v39
	;; [unrolled: 1-line block ×3, first 2 shown]
	v_fma_f32 v21, v39, s7, -v21
	v_fmac_f32_e32 v22, 0xbf6f5d39, v41
	v_fmac_f32_e32 v24, 0x3df6dbef, v39
	;; [unrolled: 1-line block ×3, first 2 shown]
	v_fma_f32 v26, v39, s6, -v26
	v_fmac_f32_e32 v27, 0x3f7e222b, v41
	s_mov_b32 s6, 0x15555556
	v_add_f32_e32 v16, v16, v30
	v_add_f32_e32 v17, v17, v29
	;; [unrolled: 1-line block ×11, first 2 shown]
	s_barrier
	ds_write2_b64 v23, v[1:2], v[13:14] offset1:13
	ds_write2_b64 v23, v[9:10], v[11:12] offset0:26 offset1:39
	ds_write2_b64 v23, v[15:16], v[19:20] offset0:52 offset1:65
	;; [unrolled: 1-line block ×5, first 2 shown]
	ds_write_b64 v23, v[3:4] offset:1248
	v_mul_hi_u32 v1, v0, s6
	s_waitcnt lgkmcnt(0)
	s_barrier
	v_mul_u32_u24_e32 v2, 12, v1
	v_sub_u32_e32 v0, v0, v2
	v_add_u32_e32 v2, s19, v0
	v_cmp_gt_u32_e32 vcc, s33, v2
	s_or_b64 s[4:5], s[4:5], vcc
	s_and_saveexec_b64 s[6:7], s[4:5]
	s_cbranch_execz .LBB0_17
; %bb.16:
	v_mad_u64_u32 v[4:5], s[4:5], s16, v0, 0
	s_mul_i32 s1, s1, s27
	v_mul_lo_u32 v6, v1, s18
	v_mov_b32_e32 v2, v5
	v_mad_u64_u32 v[2:3], s[4:5], s17, v0, v[2:3]
	s_mul_hi_u32 s4, s0, s27
	s_mul_i32 s0, s0, s27
	s_add_i32 s1, s4, s1
	s_lshl_b64 s[0:1], s[0:1], 3
	s_add_u32 s4, s22, s0
	v_mov_b32_e32 v5, v2
	s_addc_u32 s5, s23, s1
	s_lshl_b64 s[0:1], s[2:3], 3
	v_mul_i32_i24_e32 v0, 0x548, v0
	v_lshlrev_b32_e32 v1, 3, v1
	s_add_u32 s0, s4, s0
	v_lshlrev_b64 v[4:5], 3, v[4:5]
	v_add3_u32 v8, 0, v0, v1
	s_addc_u32 s1, s5, s1
	v_mov_b32_e32 v7, 0
	ds_read2_b64 v[0:3], v8 offset1:13
	v_mov_b32_e32 v9, s1
	v_add_co_u32_e32 v10, vcc, s0, v4
	v_addc_co_u32_e32 v9, vcc, v9, v5, vcc
	v_lshlrev_b64 v[4:5], 3, v[6:7]
	s_mul_i32 s0, s18, 13
	v_add_co_u32_e32 v4, vcc, v10, v4
	v_addc_co_u32_e32 v5, vcc, v9, v5, vcc
	v_add_u32_e32 v6, s0, v6
	s_waitcnt lgkmcnt(0)
	global_store_dwordx2 v[4:5], v[0:1], off
	v_lshlrev_b64 v[0:1], 3, v[6:7]
	v_add_u32_e32 v6, s0, v6
	v_add_co_u32_e32 v0, vcc, v10, v0
	v_addc_co_u32_e32 v1, vcc, v9, v1, vcc
	global_store_dwordx2 v[0:1], v[2:3], off
	ds_read2_b64 v[0:3], v8 offset0:26 offset1:39
	v_lshlrev_b64 v[4:5], 3, v[6:7]
	v_add_u32_e32 v6, s0, v6
	v_add_co_u32_e32 v4, vcc, v10, v4
	v_addc_co_u32_e32 v5, vcc, v9, v5, vcc
	s_waitcnt lgkmcnt(0)
	global_store_dwordx2 v[4:5], v[0:1], off
	v_lshlrev_b64 v[0:1], 3, v[6:7]
	v_add_u32_e32 v6, s0, v6
	v_add_co_u32_e32 v0, vcc, v10, v0
	v_addc_co_u32_e32 v1, vcc, v9, v1, vcc
	global_store_dwordx2 v[0:1], v[2:3], off
	ds_read2_b64 v[0:3], v8 offset0:52 offset1:65
	v_lshlrev_b64 v[4:5], 3, v[6:7]
	v_add_u32_e32 v6, s0, v6
	v_add_co_u32_e32 v4, vcc, v10, v4
	v_addc_co_u32_e32 v5, vcc, v9, v5, vcc
	;; [unrolled: 12-line block ×5, first 2 shown]
	s_waitcnt lgkmcnt(0)
	global_store_dwordx2 v[4:5], v[0:1], off
	v_lshlrev_b64 v[0:1], 3, v[6:7]
	v_add_u32_e32 v6, s0, v6
	v_add_co_u32_e32 v0, vcc, v10, v0
	v_addc_co_u32_e32 v1, vcc, v9, v1, vcc
	global_store_dwordx2 v[0:1], v[2:3], off
	ds_read_b64 v[0:1], v8 offset:1248
	v_lshlrev_b64 v[2:3], 3, v[6:7]
	v_add_co_u32_e32 v2, vcc, v10, v2
	v_addc_co_u32_e32 v3, vcc, v9, v3, vcc
	s_waitcnt lgkmcnt(0)
	global_store_dwordx2 v[2:3], v[0:1], off
.LBB0_17:
	s_endpgm
	.section	.rodata,"a",@progbits
	.p2align	6, 0x0
	.amdhsa_kernel fft_rtc_back_len169_factors_13_13_wgs_156_tpt_13_sp_op_CI_CI_sbrc_unaligned
		.amdhsa_group_segment_fixed_size 0
		.amdhsa_private_segment_fixed_size 0
		.amdhsa_kernarg_size 104
		.amdhsa_user_sgpr_count 6
		.amdhsa_user_sgpr_private_segment_buffer 1
		.amdhsa_user_sgpr_dispatch_ptr 0
		.amdhsa_user_sgpr_queue_ptr 0
		.amdhsa_user_sgpr_kernarg_segment_ptr 1
		.amdhsa_user_sgpr_dispatch_id 0
		.amdhsa_user_sgpr_flat_scratch_init 0
		.amdhsa_user_sgpr_private_segment_size 0
		.amdhsa_uses_dynamic_stack 0
		.amdhsa_system_sgpr_private_segment_wavefront_offset 0
		.amdhsa_system_sgpr_workgroup_id_x 1
		.amdhsa_system_sgpr_workgroup_id_y 0
		.amdhsa_system_sgpr_workgroup_id_z 0
		.amdhsa_system_sgpr_workgroup_info 0
		.amdhsa_system_vgpr_workitem_id 0
		.amdhsa_next_free_vgpr 63
		.amdhsa_next_free_sgpr 45
		.amdhsa_reserve_vcc 1
		.amdhsa_reserve_flat_scratch 0
		.amdhsa_float_round_mode_32 0
		.amdhsa_float_round_mode_16_64 0
		.amdhsa_float_denorm_mode_32 3
		.amdhsa_float_denorm_mode_16_64 3
		.amdhsa_dx10_clamp 1
		.amdhsa_ieee_mode 1
		.amdhsa_fp16_overflow 0
		.amdhsa_exception_fp_ieee_invalid_op 0
		.amdhsa_exception_fp_denorm_src 0
		.amdhsa_exception_fp_ieee_div_zero 0
		.amdhsa_exception_fp_ieee_overflow 0
		.amdhsa_exception_fp_ieee_underflow 0
		.amdhsa_exception_fp_ieee_inexact 0
		.amdhsa_exception_int_div_zero 0
	.end_amdhsa_kernel
	.text
.Lfunc_end0:
	.size	fft_rtc_back_len169_factors_13_13_wgs_156_tpt_13_sp_op_CI_CI_sbrc_unaligned, .Lfunc_end0-fft_rtc_back_len169_factors_13_13_wgs_156_tpt_13_sp_op_CI_CI_sbrc_unaligned
                                        ; -- End function
	.section	.AMDGPU.csdata,"",@progbits
; Kernel info:
; codeLenInByte = 9796
; NumSgprs: 49
; NumVgprs: 63
; ScratchSize: 0
; MemoryBound: 0
; FloatMode: 240
; IeeeMode: 1
; LDSByteSize: 0 bytes/workgroup (compile time only)
; SGPRBlocks: 6
; VGPRBlocks: 15
; NumSGPRsForWavesPerEU: 49
; NumVGPRsForWavesPerEU: 63
; Occupancy: 4
; WaveLimiterHint : 1
; COMPUTE_PGM_RSRC2:SCRATCH_EN: 0
; COMPUTE_PGM_RSRC2:USER_SGPR: 6
; COMPUTE_PGM_RSRC2:TRAP_HANDLER: 0
; COMPUTE_PGM_RSRC2:TGID_X_EN: 1
; COMPUTE_PGM_RSRC2:TGID_Y_EN: 0
; COMPUTE_PGM_RSRC2:TGID_Z_EN: 0
; COMPUTE_PGM_RSRC2:TIDIG_COMP_CNT: 0
	.type	__hip_cuid_32cb491bec7262a4,@object ; @__hip_cuid_32cb491bec7262a4
	.section	.bss,"aw",@nobits
	.globl	__hip_cuid_32cb491bec7262a4
__hip_cuid_32cb491bec7262a4:
	.byte	0                               ; 0x0
	.size	__hip_cuid_32cb491bec7262a4, 1

	.ident	"AMD clang version 19.0.0git (https://github.com/RadeonOpenCompute/llvm-project roc-6.4.0 25133 c7fe45cf4b819c5991fe208aaa96edf142730f1d)"
	.section	".note.GNU-stack","",@progbits
	.addrsig
	.addrsig_sym __hip_cuid_32cb491bec7262a4
	.amdgpu_metadata
---
amdhsa.kernels:
  - .args:
      - .actual_access:  read_only
        .address_space:  global
        .offset:         0
        .size:           8
        .value_kind:     global_buffer
      - .offset:         8
        .size:           8
        .value_kind:     by_value
      - .actual_access:  read_only
        .address_space:  global
        .offset:         16
        .size:           8
        .value_kind:     global_buffer
      - .actual_access:  read_only
        .address_space:  global
        .offset:         24
        .size:           8
        .value_kind:     global_buffer
      - .actual_access:  read_only
        .address_space:  global
        .offset:         32
        .size:           8
        .value_kind:     global_buffer
      - .offset:         40
        .size:           8
        .value_kind:     by_value
      - .actual_access:  read_only
        .address_space:  global
        .offset:         48
        .size:           8
        .value_kind:     global_buffer
      - .actual_access:  read_only
        .address_space:  global
        .offset:         56
        .size:           8
        .value_kind:     global_buffer
      - .offset:         64
        .size:           4
        .value_kind:     by_value
      - .actual_access:  read_only
        .address_space:  global
        .offset:         72
        .size:           8
        .value_kind:     global_buffer
      - .actual_access:  read_only
        .address_space:  global
        .offset:         80
        .size:           8
        .value_kind:     global_buffer
      - .actual_access:  read_only
        .address_space:  global
        .offset:         88
        .size:           8
        .value_kind:     global_buffer
      - .actual_access:  write_only
        .address_space:  global
        .offset:         96
        .size:           8
        .value_kind:     global_buffer
    .group_segment_fixed_size: 0
    .kernarg_segment_align: 8
    .kernarg_segment_size: 104
    .language:       OpenCL C
    .language_version:
      - 2
      - 0
    .max_flat_workgroup_size: 156
    .name:           fft_rtc_back_len169_factors_13_13_wgs_156_tpt_13_sp_op_CI_CI_sbrc_unaligned
    .private_segment_fixed_size: 0
    .sgpr_count:     49
    .sgpr_spill_count: 0
    .symbol:         fft_rtc_back_len169_factors_13_13_wgs_156_tpt_13_sp_op_CI_CI_sbrc_unaligned.kd
    .uniform_work_group_size: 1
    .uses_dynamic_stack: false
    .vgpr_count:     63
    .vgpr_spill_count: 0
    .wavefront_size: 64
amdhsa.target:   amdgcn-amd-amdhsa--gfx906
amdhsa.version:
  - 1
  - 2
...

	.end_amdgpu_metadata
